;; amdgpu-corpus repo=ROCm/rocFFT kind=compiled arch=gfx906 opt=O3
	.text
	.amdgcn_target "amdgcn-amd-amdhsa--gfx906"
	.amdhsa_code_object_version 6
	.protected	fft_rtc_fwd_len624_factors_13_4_6_2_wgs_52_tpt_52_dp_op_CI_CI_unitstride_sbrr_C2R_dirReg ; -- Begin function fft_rtc_fwd_len624_factors_13_4_6_2_wgs_52_tpt_52_dp_op_CI_CI_unitstride_sbrr_C2R_dirReg
	.globl	fft_rtc_fwd_len624_factors_13_4_6_2_wgs_52_tpt_52_dp_op_CI_CI_unitstride_sbrr_C2R_dirReg
	.p2align	8
	.type	fft_rtc_fwd_len624_factors_13_4_6_2_wgs_52_tpt_52_dp_op_CI_CI_unitstride_sbrr_C2R_dirReg,@function
fft_rtc_fwd_len624_factors_13_4_6_2_wgs_52_tpt_52_dp_op_CI_CI_unitstride_sbrr_C2R_dirReg: ; @fft_rtc_fwd_len624_factors_13_4_6_2_wgs_52_tpt_52_dp_op_CI_CI_unitstride_sbrr_C2R_dirReg
; %bb.0:
	s_load_dwordx4 s[8:11], s[4:5], 0x58
	s_load_dwordx4 s[12:15], s[4:5], 0x0
	;; [unrolled: 1-line block ×3, first 2 shown]
	v_mul_u32_u24_e32 v1, 0x4ed, v0
	v_add_u32_sdwa v5, s6, v1 dst_sel:DWORD dst_unused:UNUSED_PAD src0_sel:DWORD src1_sel:WORD_1
	v_mov_b32_e32 v3, 0
	s_waitcnt lgkmcnt(0)
	v_cmp_lt_u64_e64 s[0:1], s[14:15], 2
	v_mov_b32_e32 v1, 0
	v_mov_b32_e32 v6, v3
	s_and_b64 vcc, exec, s[0:1]
	v_mov_b32_e32 v2, 0
	s_cbranch_vccnz .LBB0_8
; %bb.1:
	s_load_dwordx2 s[0:1], s[4:5], 0x10
	s_add_u32 s2, s18, 8
	s_addc_u32 s3, s19, 0
	s_add_u32 s6, s16, 8
	v_mov_b32_e32 v1, 0
	s_addc_u32 s7, s17, 0
	v_mov_b32_e32 v2, 0
	s_waitcnt lgkmcnt(0)
	s_add_u32 s20, s0, 8
	v_mov_b32_e32 v53, v2
	s_addc_u32 s21, s1, 0
	s_mov_b64 s[22:23], 1
	v_mov_b32_e32 v52, v1
.LBB0_2:                                ; =>This Inner Loop Header: Depth=1
	s_load_dwordx2 s[24:25], s[20:21], 0x0
                                        ; implicit-def: $vgpr56_vgpr57
	s_waitcnt lgkmcnt(0)
	v_or_b32_e32 v4, s25, v6
	v_cmp_ne_u64_e32 vcc, 0, v[3:4]
	s_and_saveexec_b64 s[0:1], vcc
	s_xor_b64 s[26:27], exec, s[0:1]
	s_cbranch_execz .LBB0_4
; %bb.3:                                ;   in Loop: Header=BB0_2 Depth=1
	v_cvt_f32_u32_e32 v4, s24
	v_cvt_f32_u32_e32 v7, s25
	s_sub_u32 s0, 0, s24
	s_subb_u32 s1, 0, s25
	v_mac_f32_e32 v4, 0x4f800000, v7
	v_rcp_f32_e32 v4, v4
	v_mul_f32_e32 v4, 0x5f7ffffc, v4
	v_mul_f32_e32 v7, 0x2f800000, v4
	v_trunc_f32_e32 v7, v7
	v_mac_f32_e32 v4, 0xcf800000, v7
	v_cvt_u32_f32_e32 v7, v7
	v_cvt_u32_f32_e32 v4, v4
	v_mul_lo_u32 v8, s0, v7
	v_mul_hi_u32 v9, s0, v4
	v_mul_lo_u32 v11, s1, v4
	v_mul_lo_u32 v10, s0, v4
	v_add_u32_e32 v8, v9, v8
	v_add_u32_e32 v8, v8, v11
	v_mul_hi_u32 v9, v4, v10
	v_mul_lo_u32 v11, v4, v8
	v_mul_hi_u32 v13, v4, v8
	v_mul_hi_u32 v12, v7, v10
	v_mul_lo_u32 v10, v7, v10
	v_mul_hi_u32 v14, v7, v8
	v_add_co_u32_e32 v9, vcc, v9, v11
	v_addc_co_u32_e32 v11, vcc, 0, v13, vcc
	v_mul_lo_u32 v8, v7, v8
	v_add_co_u32_e32 v9, vcc, v9, v10
	v_addc_co_u32_e32 v9, vcc, v11, v12, vcc
	v_addc_co_u32_e32 v10, vcc, 0, v14, vcc
	v_add_co_u32_e32 v8, vcc, v9, v8
	v_addc_co_u32_e32 v9, vcc, 0, v10, vcc
	v_add_co_u32_e32 v4, vcc, v4, v8
	v_addc_co_u32_e32 v7, vcc, v7, v9, vcc
	v_mul_lo_u32 v8, s0, v7
	v_mul_hi_u32 v9, s0, v4
	v_mul_lo_u32 v10, s1, v4
	v_mul_lo_u32 v11, s0, v4
	v_add_u32_e32 v8, v9, v8
	v_add_u32_e32 v8, v8, v10
	v_mul_lo_u32 v12, v4, v8
	v_mul_hi_u32 v13, v4, v11
	v_mul_hi_u32 v14, v4, v8
	v_mul_hi_u32 v10, v7, v11
	v_mul_lo_u32 v11, v7, v11
	v_mul_hi_u32 v9, v7, v8
	v_add_co_u32_e32 v12, vcc, v13, v12
	v_addc_co_u32_e32 v13, vcc, 0, v14, vcc
	v_mul_lo_u32 v8, v7, v8
	v_add_co_u32_e32 v11, vcc, v12, v11
	v_addc_co_u32_e32 v10, vcc, v13, v10, vcc
	v_addc_co_u32_e32 v9, vcc, 0, v9, vcc
	v_add_co_u32_e32 v8, vcc, v10, v8
	v_addc_co_u32_e32 v9, vcc, 0, v9, vcc
	v_add_co_u32_e32 v4, vcc, v4, v8
	v_addc_co_u32_e32 v9, vcc, v7, v9, vcc
	v_mad_u64_u32 v[7:8], s[0:1], v5, v9, 0
	v_mul_hi_u32 v10, v5, v4
	v_add_co_u32_e32 v11, vcc, v10, v7
	v_addc_co_u32_e32 v12, vcc, 0, v8, vcc
	v_mad_u64_u32 v[7:8], s[0:1], v6, v4, 0
	v_mad_u64_u32 v[9:10], s[0:1], v6, v9, 0
	v_add_co_u32_e32 v4, vcc, v11, v7
	v_addc_co_u32_e32 v4, vcc, v12, v8, vcc
	v_addc_co_u32_e32 v7, vcc, 0, v10, vcc
	v_add_co_u32_e32 v4, vcc, v4, v9
	v_addc_co_u32_e32 v9, vcc, 0, v7, vcc
	v_mul_lo_u32 v10, s25, v4
	v_mul_lo_u32 v11, s24, v9
	v_mad_u64_u32 v[7:8], s[0:1], s24, v4, 0
	v_add3_u32 v8, v8, v11, v10
	v_sub_u32_e32 v10, v6, v8
	v_mov_b32_e32 v11, s25
	v_sub_co_u32_e32 v7, vcc, v5, v7
	v_subb_co_u32_e64 v10, s[0:1], v10, v11, vcc
	v_subrev_co_u32_e64 v11, s[0:1], s24, v7
	v_subbrev_co_u32_e64 v10, s[0:1], 0, v10, s[0:1]
	v_cmp_le_u32_e64 s[0:1], s25, v10
	v_cndmask_b32_e64 v12, 0, -1, s[0:1]
	v_cmp_le_u32_e64 s[0:1], s24, v11
	v_cndmask_b32_e64 v11, 0, -1, s[0:1]
	v_cmp_eq_u32_e64 s[0:1], s25, v10
	v_cndmask_b32_e64 v10, v12, v11, s[0:1]
	v_add_co_u32_e64 v11, s[0:1], 2, v4
	v_addc_co_u32_e64 v12, s[0:1], 0, v9, s[0:1]
	v_add_co_u32_e64 v13, s[0:1], 1, v4
	v_addc_co_u32_e64 v14, s[0:1], 0, v9, s[0:1]
	v_subb_co_u32_e32 v8, vcc, v6, v8, vcc
	v_cmp_ne_u32_e64 s[0:1], 0, v10
	v_cmp_le_u32_e32 vcc, s25, v8
	v_cndmask_b32_e64 v10, v14, v12, s[0:1]
	v_cndmask_b32_e64 v12, 0, -1, vcc
	v_cmp_le_u32_e32 vcc, s24, v7
	v_cndmask_b32_e64 v7, 0, -1, vcc
	v_cmp_eq_u32_e32 vcc, s25, v8
	v_cndmask_b32_e32 v7, v12, v7, vcc
	v_cmp_ne_u32_e32 vcc, 0, v7
	v_cndmask_b32_e64 v7, v13, v11, s[0:1]
	v_cndmask_b32_e32 v57, v9, v10, vcc
	v_cndmask_b32_e32 v56, v4, v7, vcc
.LBB0_4:                                ;   in Loop: Header=BB0_2 Depth=1
	s_andn2_saveexec_b64 s[0:1], s[26:27]
	s_cbranch_execz .LBB0_6
; %bb.5:                                ;   in Loop: Header=BB0_2 Depth=1
	v_cvt_f32_u32_e32 v4, s24
	s_sub_i32 s26, 0, s24
	v_mov_b32_e32 v57, v3
	v_rcp_iflag_f32_e32 v4, v4
	v_mul_f32_e32 v4, 0x4f7ffffe, v4
	v_cvt_u32_f32_e32 v4, v4
	v_mul_lo_u32 v7, s26, v4
	v_mul_hi_u32 v7, v4, v7
	v_add_u32_e32 v4, v4, v7
	v_mul_hi_u32 v4, v5, v4
	v_mul_lo_u32 v7, v4, s24
	v_add_u32_e32 v8, 1, v4
	v_sub_u32_e32 v7, v5, v7
	v_subrev_u32_e32 v9, s24, v7
	v_cmp_le_u32_e32 vcc, s24, v7
	v_cndmask_b32_e32 v7, v7, v9, vcc
	v_cndmask_b32_e32 v4, v4, v8, vcc
	v_add_u32_e32 v8, 1, v4
	v_cmp_le_u32_e32 vcc, s24, v7
	v_cndmask_b32_e32 v56, v4, v8, vcc
.LBB0_6:                                ;   in Loop: Header=BB0_2 Depth=1
	s_or_b64 exec, exec, s[0:1]
	v_mul_lo_u32 v4, v57, s24
	v_mul_lo_u32 v9, v56, s25
	v_mad_u64_u32 v[7:8], s[0:1], v56, s24, 0
	s_load_dwordx2 s[0:1], s[6:7], 0x0
	s_load_dwordx2 s[24:25], s[2:3], 0x0
	v_add3_u32 v4, v8, v9, v4
	v_sub_co_u32_e32 v5, vcc, v5, v7
	v_subb_co_u32_e32 v4, vcc, v6, v4, vcc
	s_waitcnt lgkmcnt(0)
	v_mul_lo_u32 v6, s0, v4
	v_mul_lo_u32 v7, s1, v5
	v_mad_u64_u32 v[1:2], s[0:1], s0, v5, v[1:2]
	v_mul_lo_u32 v4, s24, v4
	v_mul_lo_u32 v8, s25, v5
	v_mad_u64_u32 v[52:53], s[0:1], s24, v5, v[52:53]
	s_add_u32 s22, s22, 1
	s_addc_u32 s23, s23, 0
	s_add_u32 s2, s2, 8
	v_add3_u32 v53, v8, v53, v4
	s_addc_u32 s3, s3, 0
	v_mov_b32_e32 v4, s14
	s_add_u32 s6, s6, 8
	v_mov_b32_e32 v5, s15
	s_addc_u32 s7, s7, 0
	v_cmp_ge_u64_e32 vcc, s[22:23], v[4:5]
	s_add_u32 s20, s20, 8
	v_add3_u32 v2, v7, v2, v6
	s_addc_u32 s21, s21, 0
	s_cbranch_vccnz .LBB0_9
; %bb.7:                                ;   in Loop: Header=BB0_2 Depth=1
	v_mov_b32_e32 v5, v56
	v_mov_b32_e32 v6, v57
	s_branch .LBB0_2
.LBB0_8:
	v_mov_b32_e32 v53, v2
	v_mov_b32_e32 v57, v6
	;; [unrolled: 1-line block ×4, first 2 shown]
.LBB0_9:
	s_load_dwordx2 s[4:5], s[4:5], 0x28
	s_lshl_b64 s[6:7], s[14:15], 3
	s_add_u32 s2, s18, s6
	s_addc_u32 s3, s19, s7
                                        ; implicit-def: $vgpr54
                                        ; implicit-def: $vgpr4_vgpr5
	s_waitcnt lgkmcnt(0)
	v_cmp_gt_u64_e64 s[0:1], s[4:5], v[56:57]
	v_cmp_le_u64_e32 vcc, s[4:5], v[56:57]
	s_and_saveexec_b64 s[4:5], vcc
	s_xor_b64 s[4:5], exec, s[4:5]
; %bb.10:
	s_mov_b32 s14, 0x4ec4ec5
	v_mul_hi_u32 v1, v0, s14
	v_mov_b32_e32 v55, 0
	v_mul_u32_u24_e32 v1, 52, v1
	v_sub_u32_e32 v54, v0, v1
	v_mov_b32_e32 v4, v54
	v_mov_b32_e32 v5, v55
                                        ; implicit-def: $vgpr0
                                        ; implicit-def: $vgpr1_vgpr2
; %bb.11:
	s_or_saveexec_b64 s[4:5], s[4:5]
	s_load_dwordx2 s[2:3], s[2:3], 0x0
	s_xor_b64 exec, exec, s[4:5]
	s_cbranch_execz .LBB0_15
; %bb.12:
	s_add_u32 s6, s16, s6
	s_addc_u32 s7, s17, s7
	s_load_dwordx2 s[6:7], s[6:7], 0x0
	s_mov_b32 s14, 0x4ec4ec5
	v_mul_hi_u32 v5, v0, s14
	v_lshlrev_b64 v[1:2], 4, v[1:2]
	v_mov_b32_e32 v55, 0
	s_waitcnt lgkmcnt(0)
	v_mul_lo_u32 v6, s7, v56
	v_mul_lo_u32 v7, s6, v57
	v_mad_u64_u32 v[3:4], s[6:7], s6, v56, 0
	v_mul_u32_u24_e32 v5, 52, v5
	v_sub_u32_e32 v54, v0, v5
	v_add3_u32 v4, v4, v7, v6
	v_lshlrev_b64 v[3:4], 4, v[3:4]
	v_mov_b32_e32 v0, s9
	v_add_co_u32_e32 v3, vcc, s8, v3
	v_addc_co_u32_e32 v0, vcc, v0, v4, vcc
	v_add_co_u32_e32 v1, vcc, v3, v1
	v_addc_co_u32_e32 v0, vcc, v0, v2, vcc
	v_lshlrev_b32_e32 v58, 4, v54
	v_add_co_u32_e32 v41, vcc, v1, v58
	v_addc_co_u32_e32 v42, vcc, 0, v0, vcc
	s_movk_i32 s6, 0x1000
	v_add_co_u32_e32 v43, vcc, s6, v41
	v_addc_co_u32_e32 v44, vcc, 0, v42, vcc
	v_add_co_u32_e32 v50, vcc, 0x2000, v41
	v_addc_co_u32_e32 v51, vcc, 0, v42, vcc
	global_load_dwordx4 v[2:5], v[41:42], off
	global_load_dwordx4 v[6:9], v[41:42], off offset:832
	global_load_dwordx4 v[10:13], v[41:42], off offset:1664
	global_load_dwordx4 v[14:17], v[41:42], off offset:2496
	global_load_dwordx4 v[18:21], v[41:42], off offset:3328
	global_load_dwordx4 v[22:25], v[43:44], off offset:64
	global_load_dwordx4 v[26:29], v[43:44], off offset:896
	global_load_dwordx4 v[30:33], v[43:44], off offset:1728
	global_load_dwordx4 v[34:37], v[43:44], off offset:2560
	s_nop 0
	global_load_dwordx4 v[38:41], v[43:44], off offset:3392
	s_nop 0
	global_load_dwordx4 v[42:45], v[50:51], off offset:128
	global_load_dwordx4 v[46:49], v[50:51], off offset:960
	v_add_u32_e32 v50, 0, v58
	v_cmp_eq_u32_e32 vcc, 51, v54
	s_waitcnt vmcnt(11)
	ds_write_b128 v50, v[2:5]
	s_waitcnt vmcnt(10)
	ds_write_b128 v50, v[6:9] offset:832
	s_waitcnt vmcnt(9)
	ds_write_b128 v50, v[10:13] offset:1664
	;; [unrolled: 2-line block ×11, first 2 shown]
	v_mov_b32_e32 v4, v54
	v_mov_b32_e32 v5, v55
	s_and_saveexec_b64 s[6:7], vcc
	s_cbranch_execz .LBB0_14
; %bb.13:
	v_add_co_u32_e32 v1, vcc, 0x2000, v1
	v_addc_co_u32_e32 v2, vcc, 0, v0, vcc
	global_load_dwordx4 v[0:3], v[1:2], off offset:1792
	v_mov_b32_e32 v4, 51
	v_mov_b32_e32 v5, 0
	;; [unrolled: 1-line block ×3, first 2 shown]
	s_waitcnt vmcnt(0)
	ds_write_b128 v55, v[0:3] offset:9984
.LBB0_14:
	s_or_b64 exec, exec, s[6:7]
.LBB0_15:
	s_or_b64 exec, exec, s[4:5]
	v_lshlrev_b32_e32 v0, 4, v54
	v_add_u32_e32 v88, 0, v0
	s_waitcnt lgkmcnt(0)
	; wave barrier
	s_waitcnt lgkmcnt(0)
	v_sub_u32_e32 v10, 0, v0
	ds_read_b64 v[6:7], v88
	ds_read_b64 v[8:9], v10 offset:9984
	s_add_u32 s6, s12, 0x2630
	v_lshlrev_b64 v[58:59], 4, v[4:5]
	s_addc_u32 s7, s13, 0
	v_cmp_ne_u32_e32 vcc, 0, v54
	s_waitcnt lgkmcnt(0)
	v_add_f64 v[0:1], v[6:7], v[8:9]
	v_add_f64 v[2:3], v[6:7], -v[8:9]
	s_and_saveexec_b64 s[4:5], vcc
	s_xor_b64 s[4:5], exec, s[4:5]
	s_cbranch_execz .LBB0_17
; %bb.16:
	v_mov_b32_e32 v1, s7
	v_add_co_u32_e32 v0, vcc, s6, v58
	v_addc_co_u32_e32 v1, vcc, v1, v59, vcc
	global_load_dwordx4 v[2:5], v[0:1], off
	ds_read_b64 v[0:1], v10 offset:9992
	ds_read_b64 v[11:12], v88 offset:8
	v_add_f64 v[13:14], v[6:7], v[8:9]
	v_add_f64 v[8:9], v[6:7], -v[8:9]
	s_waitcnt lgkmcnt(0)
	v_add_f64 v[15:16], v[0:1], v[11:12]
	v_add_f64 v[0:1], v[11:12], -v[0:1]
	s_waitcnt vmcnt(0)
	v_fma_f64 v[6:7], -v[8:9], v[4:5], v[13:14]
	v_fma_f64 v[11:12], v[15:16], v[4:5], -v[0:1]
	v_fma_f64 v[13:14], v[8:9], v[4:5], v[13:14]
	v_fma_f64 v[17:18], v[15:16], v[4:5], v[0:1]
	;; [unrolled: 1-line block ×4, first 2 shown]
	v_fma_f64 v[0:1], -v[15:16], v[2:3], v[13:14]
	v_fma_f64 v[2:3], v[8:9], v[2:3], v[17:18]
	ds_write_b128 v10, v[4:7] offset:9984
.LBB0_17:
	s_andn2_saveexec_b64 s[4:5], s[4:5]
	s_cbranch_execz .LBB0_19
; %bb.18:
	v_mov_b32_e32 v8, 0
	ds_read_b128 v[4:7], v8 offset:4992
	s_waitcnt lgkmcnt(0)
	v_add_f64 v[4:5], v[4:5], v[4:5]
	v_mul_f64 v[6:7], v[6:7], -2.0
	ds_write_b128 v8, v[4:7] offset:4992
.LBB0_19:
	s_or_b64 exec, exec, s[4:5]
	v_mov_b32_e32 v55, 0
	v_lshlrev_b64 v[60:61], 4, v[54:55]
	v_mov_b32_e32 v4, s7
	v_add_co_u32_e32 v23, vcc, s6, v60
	v_addc_co_u32_e32 v24, vcc, v4, v61, vcc
	global_load_dwordx4 v[4:7], v[23:24], off offset:832
	global_load_dwordx4 v[11:14], v[23:24], off offset:1664
	ds_write_b128 v88, v[0:3]
	ds_read_b128 v[0:3], v88 offset:832
	ds_read_b128 v[15:18], v10 offset:9152
	global_load_dwordx4 v[19:22], v[23:24], off offset:2496
	s_movk_i32 s33, 0x1000
	s_waitcnt lgkmcnt(0)
	v_add_f64 v[8:9], v[0:1], v[15:16]
	v_add_f64 v[25:26], v[17:18], v[2:3]
	v_add_f64 v[15:16], v[0:1], -v[15:16]
	v_add_f64 v[0:1], v[2:3], -v[17:18]
	s_waitcnt vmcnt(2)
	v_fma_f64 v[2:3], v[15:16], v[6:7], v[8:9]
	v_fma_f64 v[17:18], v[25:26], v[6:7], v[0:1]
	v_fma_f64 v[8:9], -v[15:16], v[6:7], v[8:9]
	v_fma_f64 v[27:28], v[25:26], v[6:7], -v[0:1]
	v_fma_f64 v[0:1], -v[25:26], v[4:5], v[2:3]
	v_fma_f64 v[2:3], v[15:16], v[4:5], v[17:18]
	v_fma_f64 v[6:7], v[25:26], v[4:5], v[8:9]
	;; [unrolled: 1-line block ×3, first 2 shown]
	ds_write_b128 v88, v[0:3] offset:832
	ds_write_b128 v10, v[6:9] offset:9152
	ds_read_b128 v[0:3], v88 offset:1664
	ds_read_b128 v[4:7], v10 offset:8320
	global_load_dwordx4 v[15:18], v[23:24], off offset:3328
	s_waitcnt lgkmcnt(0)
	v_add_f64 v[8:9], v[0:1], v[4:5]
	v_add_f64 v[25:26], v[6:7], v[2:3]
	v_add_f64 v[27:28], v[0:1], -v[4:5]
	v_add_f64 v[0:1], v[2:3], -v[6:7]
	s_waitcnt vmcnt(2)
	v_fma_f64 v[2:3], v[27:28], v[13:14], v[8:9]
	v_fma_f64 v[4:5], v[25:26], v[13:14], v[0:1]
	v_fma_f64 v[6:7], -v[27:28], v[13:14], v[8:9]
	v_fma_f64 v[8:9], v[25:26], v[13:14], -v[0:1]
	v_fma_f64 v[0:1], -v[25:26], v[11:12], v[2:3]
	v_fma_f64 v[2:3], v[27:28], v[11:12], v[4:5]
	v_fma_f64 v[4:5], v[25:26], v[11:12], v[6:7]
	;; [unrolled: 1-line block ×3, first 2 shown]
	v_add_co_u32_e32 v8, vcc, s33, v23
	ds_write_b128 v88, v[0:3] offset:1664
	ds_write_b128 v10, v[4:7] offset:8320
	v_addc_co_u32_e32 v9, vcc, 0, v24, vcc
	ds_read_b128 v[0:3], v88 offset:2496
	ds_read_b128 v[4:7], v10 offset:7488
	global_load_dwordx4 v[11:14], v[8:9], off offset:64
	v_cmp_gt_u32_e32 vcc, 48, v54
	s_waitcnt lgkmcnt(0)
	v_add_f64 v[8:9], v[0:1], v[4:5]
	v_add_f64 v[23:24], v[6:7], v[2:3]
	v_add_f64 v[25:26], v[0:1], -v[4:5]
	v_add_f64 v[0:1], v[2:3], -v[6:7]
	s_waitcnt vmcnt(2)
	v_fma_f64 v[2:3], v[25:26], v[21:22], v[8:9]
	v_fma_f64 v[4:5], v[23:24], v[21:22], v[0:1]
	v_fma_f64 v[6:7], -v[25:26], v[21:22], v[8:9]
	v_fma_f64 v[8:9], v[23:24], v[21:22], -v[0:1]
	v_fma_f64 v[0:1], -v[23:24], v[19:20], v[2:3]
	v_fma_f64 v[2:3], v[25:26], v[19:20], v[4:5]
	v_fma_f64 v[4:5], v[23:24], v[19:20], v[6:7]
	;; [unrolled: 1-line block ×3, first 2 shown]
	ds_write_b128 v88, v[0:3] offset:2496
	ds_write_b128 v10, v[4:7] offset:7488
	ds_read_b128 v[0:3], v88 offset:3328
	ds_read_b128 v[4:7], v10 offset:6656
	s_waitcnt lgkmcnt(0)
	v_add_f64 v[8:9], v[0:1], v[4:5]
	v_add_f64 v[19:20], v[6:7], v[2:3]
	v_add_f64 v[21:22], v[0:1], -v[4:5]
	v_add_f64 v[0:1], v[2:3], -v[6:7]
	s_waitcnt vmcnt(1)
	v_fma_f64 v[2:3], v[21:22], v[17:18], v[8:9]
	v_fma_f64 v[4:5], v[19:20], v[17:18], v[0:1]
	v_fma_f64 v[6:7], -v[21:22], v[17:18], v[8:9]
	v_fma_f64 v[8:9], v[19:20], v[17:18], -v[0:1]
	v_fma_f64 v[0:1], -v[19:20], v[15:16], v[2:3]
	v_fma_f64 v[2:3], v[21:22], v[15:16], v[4:5]
	v_fma_f64 v[4:5], v[19:20], v[15:16], v[6:7]
	;; [unrolled: 1-line block ×3, first 2 shown]
	ds_write_b128 v88, v[0:3] offset:3328
	ds_write_b128 v10, v[4:7] offset:6656
	ds_read_b128 v[0:3], v88 offset:4160
	ds_read_b128 v[4:7], v10 offset:5824
	s_waitcnt lgkmcnt(0)
	v_add_f64 v[8:9], v[0:1], v[4:5]
	v_add_f64 v[15:16], v[6:7], v[2:3]
	v_add_f64 v[17:18], v[0:1], -v[4:5]
	v_add_f64 v[0:1], v[2:3], -v[6:7]
	s_waitcnt vmcnt(0)
	v_fma_f64 v[2:3], v[17:18], v[13:14], v[8:9]
	v_fma_f64 v[4:5], v[15:16], v[13:14], v[0:1]
	v_fma_f64 v[6:7], -v[17:18], v[13:14], v[8:9]
	v_fma_f64 v[8:9], v[15:16], v[13:14], -v[0:1]
	v_fma_f64 v[0:1], -v[15:16], v[11:12], v[2:3]
	v_fma_f64 v[2:3], v[17:18], v[11:12], v[4:5]
	v_fma_f64 v[4:5], v[15:16], v[11:12], v[6:7]
	v_fma_f64 v[6:7], v[17:18], v[11:12], v[8:9]
	ds_write_b128 v88, v[0:3] offset:4160
	ds_write_b128 v10, v[4:7] offset:5824
	s_waitcnt lgkmcnt(0)
	; wave barrier
	s_waitcnt lgkmcnt(0)
	s_waitcnt lgkmcnt(0)
	; wave barrier
	s_waitcnt lgkmcnt(0)
	ds_read_b128 v[0:3], v88
	ds_read_b128 v[36:39], v88 offset:768
	ds_read_b128 v[40:43], v88 offset:1536
	;; [unrolled: 1-line block ×12, first 2 shown]
	s_waitcnt lgkmcnt(0)
	; wave barrier
	s_waitcnt lgkmcnt(0)
	s_and_saveexec_b64 s[4:5], vcc
	s_cbranch_execz .LBB0_21
; %bb.20:
	v_add_f64 v[68:69], v[2:3], v[38:39]
	v_add_f64 v[70:71], v[0:1], v[36:37]
	;; [unrolled: 1-line block ×3, first 2 shown]
	v_add_f64 v[76:77], v[46:47], -v[34:35]
	v_add_f64 v[86:87], v[38:39], v[14:15]
	s_mov_b32 s6, 0x93053d00
	s_mov_b32 s7, 0xbfef11f4
	;; [unrolled: 1-line block ×3, first 2 shown]
	v_add_f64 v[80:81], v[68:69], v[42:43]
	v_add_f64 v[84:85], v[70:71], v[40:41]
	v_add_f64 v[70:71], v[44:45], -v[32:33]
	v_add_f64 v[68:69], v[44:45], v[32:33]
	s_mov_b32 s8, 0x4bc48dbf
	s_mov_b32 s21, 0x3fec55a7
	;; [unrolled: 1-line block ×3, first 2 shown]
	v_add_f64 v[82:83], v[50:51], v[30:31]
	v_add_f64 v[89:90], v[80:81], v[50:51]
	;; [unrolled: 1-line block ×4, first 2 shown]
	v_add_f64 v[80:81], v[50:51], -v[30:31]
	v_add_f64 v[50:51], v[40:41], -v[24:25]
	s_mov_b32 s30, 0x4267c47c
	s_mov_b32 s31, 0xbfddbe06
	v_add_f64 v[38:39], v[38:39], -v[14:15]
	v_add_f64 v[46:47], v[89:90], v[46:47]
	v_add_f64 v[89:90], v[91:92], v[44:45]
	v_add_f64 v[44:45], v[42:43], -v[26:27]
	v_add_f64 v[42:43], v[36:37], -v[12:13]
	v_mul_f64 v[91:92], v[86:87], s[6:7]
	v_mul_f64 v[93:94], v[84:85], s[20:21]
	s_mov_b32 s14, 0xd0032e0c
	s_mov_b32 s15, 0xbfe7f3cc
	v_add_f64 v[46:47], v[46:47], v[18:19]
	v_add_f64 v[89:90], v[89:90], v[16:17]
	s_mov_b32 s19, 0xbfcea1e5
	s_mov_b32 s18, s8
	v_fma_f64 v[95:96], v[42:43], s[8:9], v[91:92]
	v_fma_f64 v[99:100], v[50:51], s[30:31], v[93:94]
	v_add_f64 v[74:75], v[48:49], -v[28:29]
	v_add_f64 v[36:37], v[36:37], v[12:13]
	v_add_f64 v[46:47], v[46:47], v[6:7]
	;; [unrolled: 1-line block ×3, first 2 shown]
	v_mul_f64 v[97:98], v[82:83], s[14:15]
	s_mov_b32 s16, 0x24c2f84
	v_add_f64 v[95:96], v[2:3], v[95:96]
	s_mov_b32 s24, 0x1ea71119
	s_mov_b32 s17, 0x3fe5384d
	s_mov_b32 s25, 0x3fe22d96
	v_add_f64 v[46:47], v[46:47], v[10:11]
	v_add_f64 v[89:90], v[89:90], v[8:9]
	s_mov_b32 s37, 0x3fddbe06
	s_mov_b32 s36, s30
	v_add_f64 v[95:96], v[99:100], v[95:96]
	v_mul_f64 v[99:100], v[38:39], s[18:19]
	v_add_f64 v[72:73], v[18:19], v[22:23]
	v_add_f64 v[40:41], v[40:41], v[24:25]
	v_add_f64 v[46:47], v[46:47], v[22:23]
	v_add_f64 v[89:90], v[89:90], v[20:21]
	v_fma_f64 v[101:102], v[74:75], s[16:17], v[97:98]
	v_mul_f64 v[103:104], v[78:79], s[24:25]
	s_mov_b32 s40, 0x42a4c3d2
	s_mov_b32 s22, 0xb2365da1
	;; [unrolled: 1-line block ×4, first 2 shown]
	v_add_f64 v[34:35], v[46:47], v[34:35]
	v_add_f64 v[32:33], v[89:90], v[32:33]
	v_fma_f64 v[46:47], v[36:37], s[6:7], v[99:100]
	v_mul_f64 v[89:90], v[44:45], s[36:37]
	s_mov_b32 s27, 0xbfe5384d
	s_mov_b32 s26, s16
	v_add_f64 v[66:67], v[16:17], -v[20:21]
	v_add_f64 v[48:49], v[48:49], v[28:29]
	v_add_f64 v[95:96], v[101:102], v[95:96]
	v_fma_f64 v[101:102], v[70:71], s[40:41], v[103:104]
	v_mul_f64 v[105:106], v[72:73], s[22:23]
	v_add_f64 v[46:47], v[0:1], v[46:47]
	v_fma_f64 v[107:108], v[40:41], s[20:21], v[89:90]
	v_mul_f64 v[109:110], v[80:81], s[26:27]
	v_add_f64 v[30:31], v[34:35], v[30:31]
	v_add_f64 v[32:33], v[32:33], v[28:29]
	s_mov_b32 s28, 0x2ef20147
	s_mov_b32 s29, 0x3fedeba7
	;; [unrolled: 1-line block ×4, first 2 shown]
	v_add_f64 v[64:65], v[6:7], v[10:11]
	v_add_f64 v[62:63], v[4:5], -v[8:9]
	v_add_f64 v[34:35], v[101:102], v[95:96]
	v_fma_f64 v[95:96], v[66:67], s[28:29], v[105:106]
	v_add_f64 v[46:47], v[107:108], v[46:47]
	v_fma_f64 v[101:102], v[48:49], s[14:15], v[109:110]
	v_mul_f64 v[107:108], v[76:77], s[34:35]
	v_add_f64 v[28:29], v[4:5], v[8:9]
	v_add_f64 v[22:23], v[18:19], -v[22:23]
	v_add_f64 v[4:5], v[30:31], v[26:27]
	v_add_f64 v[8:9], v[32:33], v[24:25]
	v_fma_f64 v[26:27], v[42:43], s[18:19], v[91:92]
	v_fma_f64 v[32:33], v[36:37], s[6:7], -v[99:100]
	s_mov_b32 s42, 0xebaa3ed8
	s_mov_b32 s39, 0xbfedeba7
	;; [unrolled: 1-line block ×4, first 2 shown]
	v_add_f64 v[20:21], v[16:17], v[20:21]
	v_add_f64 v[16:17], v[95:96], v[34:35]
	;; [unrolled: 1-line block ×3, first 2 shown]
	v_fma_f64 v[24:25], v[68:69], s[24:25], v[107:108]
	v_mul_f64 v[30:31], v[22:23], s[38:39]
	v_mul_f64 v[34:35], v[64:65], s[42:43]
	v_fma_f64 v[46:47], v[50:51], s[36:37], v[93:94]
	v_add_f64 v[26:27], v[2:3], v[26:27]
	v_fma_f64 v[89:90], v[40:41], s[20:21], -v[89:90]
	v_add_f64 v[32:33], v[0:1], v[32:33]
	s_mov_b32 s46, 0x66966769
	s_mov_b32 s47, 0xbfefc445
	v_add_f64 v[18:19], v[24:25], v[18:19]
	v_fma_f64 v[91:92], v[20:21], s[22:23], v[30:31]
	v_fma_f64 v[93:94], v[62:63], s[46:47], v[34:35]
	v_add_f64 v[26:27], v[46:47], v[26:27]
	v_fma_f64 v[46:47], v[74:75], s[26:27], v[97:98]
	v_add_f64 v[24:25], v[6:7], -v[10:11]
	v_add_f64 v[10:11], v[4:5], v[14:15]
	v_add_f64 v[4:5], v[89:90], v[32:33]
	v_fma_f64 v[14:15], v[48:49], s[14:15], -v[109:110]
	v_add_f64 v[8:9], v[8:9], v[12:13]
	v_add_f64 v[12:13], v[91:92], v[18:19]
	;; [unrolled: 1-line block ×4, first 2 shown]
	v_fma_f64 v[18:19], v[70:71], s[34:35], v[103:104]
	v_mul_f64 v[26:27], v[86:87], s[14:15]
	v_mul_f64 v[32:33], v[38:39], s[26:27]
	v_add_f64 v[4:5], v[14:15], v[4:5]
	v_fma_f64 v[14:15], v[68:69], s[24:25], -v[107:108]
	s_mov_b32 s45, 0x3fefc445
	s_mov_b32 s44, s46
	v_mul_f64 v[46:47], v[24:25], s[44:45]
	v_add_f64 v[16:17], v[18:19], v[16:17]
	v_fma_f64 v[18:19], v[66:67], s[38:39], v[105:106]
	v_fma_f64 v[89:90], v[42:43], s[16:17], v[26:27]
	v_mul_f64 v[91:92], v[84:85], s[42:43]
	v_add_f64 v[4:5], v[14:15], v[4:5]
	v_fma_f64 v[14:15], v[20:21], s[22:23], -v[30:31]
	v_fma_f64 v[30:31], v[36:37], s[14:15], v[32:33]
	v_mul_f64 v[93:94], v[44:45], s[44:45]
	v_fma_f64 v[95:96], v[28:29], s[42:43], v[46:47]
	v_add_f64 v[16:17], v[18:19], v[16:17]
	v_add_f64 v[18:19], v[2:3], v[89:90]
	v_fma_f64 v[89:90], v[50:51], s[46:47], v[91:92]
	v_mul_f64 v[97:98], v[82:83], s[24:25]
	v_add_f64 v[99:100], v[14:15], v[4:5]
	v_add_f64 v[14:15], v[0:1], v[30:31]
	v_fma_f64 v[30:31], v[40:41], s[42:43], v[93:94]
	v_mul_f64 v[101:102], v[80:81], s[40:41]
	v_fma_f64 v[34:35], v[62:63], s[44:45], v[34:35]
	v_fma_f64 v[46:47], v[28:29], s[42:43], -v[46:47]
	v_add_f64 v[18:19], v[89:90], v[18:19]
	v_fma_f64 v[89:90], v[74:75], s[34:35], v[97:98]
	v_add_f64 v[4:5], v[95:96], v[12:13]
	v_mul_f64 v[95:96], v[78:79], s[6:7]
	v_add_f64 v[30:31], v[30:31], v[14:15]
	v_fma_f64 v[103:104], v[48:49], s[24:25], v[101:102]
	v_mul_f64 v[105:106], v[76:77], s[8:9]
	v_add_f64 v[14:15], v[34:35], v[16:17]
	v_add_f64 v[12:13], v[46:47], v[99:100]
	;; [unrolled: 1-line block ×3, first 2 shown]
	v_fma_f64 v[18:19], v[42:43], s[26:27], v[26:27]
	v_fma_f64 v[26:27], v[70:71], s[18:19], v[95:96]
	v_mul_f64 v[34:35], v[72:73], s[20:21]
	v_add_f64 v[30:31], v[103:104], v[30:31]
	v_fma_f64 v[46:47], v[68:69], s[6:7], v[105:106]
	v_fma_f64 v[32:33], v[36:37], s[14:15], -v[32:33]
	v_mul_f64 v[89:90], v[22:23], s[36:37]
	v_fma_f64 v[91:92], v[50:51], s[44:45], v[91:92]
	v_add_f64 v[18:19], v[2:3], v[18:19]
	v_add_f64 v[16:17], v[26:27], v[16:17]
	v_fma_f64 v[26:27], v[66:67], s[30:31], v[34:35]
	v_mul_f64 v[99:100], v[64:65], s[22:23]
	v_add_f64 v[30:31], v[46:47], v[30:31]
	v_fma_f64 v[46:47], v[40:41], s[42:43], -v[93:94]
	v_add_f64 v[32:33], v[0:1], v[32:33]
	v_fma_f64 v[93:94], v[20:21], s[20:21], v[89:90]
	v_add_f64 v[18:19], v[91:92], v[18:19]
	v_fma_f64 v[91:92], v[74:75], s[40:41], v[97:98]
	;; [unrolled: 2-line block ×3, first 2 shown]
	v_mul_f64 v[97:98], v[86:87], s[22:23]
	v_mul_f64 v[103:104], v[24:25], s[38:39]
	v_add_f64 v[32:33], v[46:47], v[32:33]
	v_fma_f64 v[46:47], v[48:49], s[24:25], -v[101:102]
	v_add_f64 v[30:31], v[93:94], v[30:31]
	v_add_f64 v[91:92], v[91:92], v[18:19]
	v_fma_f64 v[93:94], v[70:71], s[8:9], v[95:96]
	v_add_f64 v[18:19], v[26:27], v[16:17]
	v_fma_f64 v[16:17], v[42:43], s[28:29], v[97:98]
	v_mul_f64 v[26:27], v[84:85], s[14:15]
	v_fma_f64 v[95:96], v[28:29], s[22:23], v[103:104]
	v_add_f64 v[32:33], v[46:47], v[32:33]
	v_fma_f64 v[46:47], v[68:69], s[6:7], -v[105:106]
	v_mul_f64 v[101:102], v[38:39], s[38:39]
	v_add_f64 v[91:92], v[93:94], v[91:92]
	v_fma_f64 v[34:35], v[66:67], s[36:37], v[34:35]
	v_add_f64 v[93:94], v[2:3], v[16:17]
	v_fma_f64 v[105:106], v[50:51], s[26:27], v[26:27]
	v_mul_f64 v[107:108], v[82:83], s[20:21]
	v_add_f64 v[16:17], v[95:96], v[30:31]
	v_add_f64 v[30:31], v[46:47], v[32:33]
	v_fma_f64 v[32:33], v[36:37], s[22:23], v[101:102]
	v_mul_f64 v[46:47], v[44:45], s[16:17]
	v_fma_f64 v[89:90], v[20:21], s[20:21], -v[89:90]
	v_add_f64 v[34:35], v[34:35], v[91:92]
	v_add_f64 v[91:92], v[105:106], v[93:94]
	v_fma_f64 v[93:94], v[74:75], s[30:31], v[107:108]
	v_mul_f64 v[95:96], v[78:79], s[42:43]
	v_fma_f64 v[99:100], v[62:63], s[38:39], v[99:100]
	v_add_f64 v[105:106], v[0:1], v[32:33]
	v_fma_f64 v[109:110], v[40:41], s[14:15], v[46:47]
	v_add_f64 v[30:31], v[89:90], v[30:31]
	v_mul_f64 v[89:90], v[80:81], s[36:37]
	v_fma_f64 v[103:104], v[28:29], s[22:23], -v[103:104]
	v_add_f64 v[91:92], v[93:94], v[91:92]
	v_fma_f64 v[93:94], v[70:71], s[44:45], v[95:96]
	v_mul_f64 v[111:112], v[72:73], s[6:7]
	v_add_f64 v[32:33], v[99:100], v[34:35]
	v_add_f64 v[34:35], v[109:110], v[105:106]
	v_fma_f64 v[97:98], v[42:43], s[38:39], v[97:98]
	v_fma_f64 v[99:100], v[48:49], s[20:21], v[89:90]
	v_mul_f64 v[105:106], v[76:77], s[46:47]
	v_fma_f64 v[101:102], v[36:37], s[22:23], -v[101:102]
	v_add_f64 v[30:31], v[103:104], v[30:31]
	v_add_f64 v[91:92], v[93:94], v[91:92]
	v_fma_f64 v[93:94], v[66:67], s[18:19], v[111:112]
	v_fma_f64 v[26:27], v[50:51], s[16:17], v[26:27]
	v_add_f64 v[97:98], v[2:3], v[97:98]
	v_add_f64 v[34:35], v[99:100], v[34:35]
	v_fma_f64 v[99:100], v[68:69], s[42:43], v[105:106]
	v_mul_f64 v[103:104], v[22:23], s[8:9]
	v_fma_f64 v[46:47], v[40:41], s[14:15], -v[46:47]
	v_add_f64 v[101:102], v[0:1], v[101:102]
	v_mul_f64 v[109:110], v[64:65], s[24:25]
	v_add_f64 v[91:92], v[93:94], v[91:92]
	v_add_f64 v[26:27], v[26:27], v[97:98]
	v_fma_f64 v[93:94], v[74:75], s[36:37], v[107:108]
	v_add_f64 v[34:35], v[99:100], v[34:35]
	v_fma_f64 v[97:98], v[20:21], s[6:7], v[103:104]
	v_mul_f64 v[107:108], v[86:87], s[42:43]
	v_add_f64 v[46:47], v[46:47], v[101:102]
	v_fma_f64 v[89:90], v[48:49], s[20:21], -v[89:90]
	v_fma_f64 v[99:100], v[62:63], s[40:41], v[109:110]
	v_mul_f64 v[101:102], v[24:25], s[34:35]
	v_add_f64 v[26:27], v[93:94], v[26:27]
	v_fma_f64 v[93:94], v[70:71], s[46:47], v[95:96]
	v_add_f64 v[34:35], v[97:98], v[34:35]
	v_fma_f64 v[95:96], v[42:43], s[44:45], v[107:108]
	v_mul_f64 v[97:98], v[84:85], s[6:7]
	v_add_f64 v[46:47], v[89:90], v[46:47]
	v_fma_f64 v[89:90], v[68:69], s[42:43], -v[105:106]
	v_add_f64 v[91:92], v[99:100], v[91:92]
	v_fma_f64 v[99:100], v[28:29], s[24:25], v[101:102]
	v_add_f64 v[26:27], v[93:94], v[26:27]
	v_mul_f64 v[93:94], v[38:39], s[46:47]
	v_fma_f64 v[105:106], v[66:67], s[8:9], v[111:112]
	v_add_f64 v[95:96], v[2:3], v[95:96]
	v_fma_f64 v[111:112], v[50:51], s[8:9], v[97:98]
	v_mul_f64 v[113:114], v[82:83], s[22:23]
	v_add_f64 v[46:47], v[89:90], v[46:47]
	v_fma_f64 v[103:104], v[20:21], s[6:7], -v[103:104]
	v_add_f64 v[89:90], v[99:100], v[34:35]
	v_fma_f64 v[34:35], v[36:37], s[42:43], v[93:94]
	v_mul_f64 v[99:100], v[44:45], s[18:19]
	v_add_f64 v[26:27], v[105:106], v[26:27]
	v_add_f64 v[95:96], v[111:112], v[95:96]
	v_fma_f64 v[105:106], v[74:75], s[38:39], v[113:114]
	v_mul_f64 v[111:112], v[78:79], s[20:21]
	v_add_f64 v[46:47], v[103:104], v[46:47]
	v_fma_f64 v[103:104], v[62:63], s[34:35], v[109:110]
	v_add_f64 v[34:35], v[0:1], v[34:35]
	v_fma_f64 v[109:110], v[40:41], s[6:7], v[99:100]
	v_mul_f64 v[115:116], v[80:81], s[28:29]
	v_mul_f64 v[119:120], v[72:73], s[24:25]
	v_add_f64 v[105:106], v[105:106], v[95:96]
	v_fma_f64 v[117:118], v[70:71], s[30:31], v[111:112]
	v_fma_f64 v[93:94], v[36:37], s[42:43], -v[93:94]
	v_add_f64 v[95:96], v[103:104], v[26:27]
	v_fma_f64 v[26:27], v[42:43], s[46:47], v[107:108]
	v_fma_f64 v[101:102], v[28:29], s[24:25], -v[101:102]
	v_add_f64 v[34:35], v[109:110], v[34:35]
	v_fma_f64 v[103:104], v[48:49], s[22:23], v[115:116]
	v_mul_f64 v[107:108], v[76:77], s[36:37]
	v_add_f64 v[105:106], v[117:118], v[105:106]
	v_fma_f64 v[109:110], v[66:67], s[34:35], v[119:120]
	v_fma_f64 v[97:98], v[50:51], s[18:19], v[97:98]
	v_add_f64 v[26:27], v[2:3], v[26:27]
	v_fma_f64 v[99:100], v[40:41], s[6:7], -v[99:100]
	v_add_f64 v[117:118], v[0:1], v[93:94]
	v_add_f64 v[34:35], v[103:104], v[34:35]
	v_fma_f64 v[103:104], v[68:69], s[20:21], v[107:108]
	v_mul_f64 v[121:122], v[22:23], s[40:41]
	v_add_f64 v[93:94], v[101:102], v[46:47]
	v_add_f64 v[46:47], v[109:110], v[105:106]
	;; [unrolled: 1-line block ×3, first 2 shown]
	v_fma_f64 v[97:98], v[74:75], s[28:29], v[113:114]
	v_add_f64 v[99:100], v[99:100], v[117:118]
	v_fma_f64 v[101:102], v[48:49], s[22:23], -v[115:116]
	v_mul_f64 v[109:110], v[86:87], s[24:25]
	v_add_f64 v[34:35], v[103:104], v[34:35]
	v_fma_f64 v[103:104], v[20:21], s[24:25], v[121:122]
	v_mul_f64 v[105:106], v[64:65], s[14:15]
	v_fma_f64 v[117:118], v[66:67], s[40:41], v[119:120]
	v_add_f64 v[26:27], v[97:98], v[26:27]
	v_fma_f64 v[97:98], v[70:71], s[36:37], v[111:112]
	v_add_f64 v[99:100], v[101:102], v[99:100]
	v_fma_f64 v[101:102], v[68:69], s[20:21], -v[107:108]
	v_fma_f64 v[107:108], v[42:43], s[34:35], v[109:110]
	v_mul_f64 v[111:112], v[84:85], s[22:23]
	v_add_f64 v[34:35], v[103:104], v[34:35]
	v_fma_f64 v[103:104], v[62:63], s[16:17], v[105:106]
	v_mul_f64 v[125:126], v[82:83], s[6:7]
	v_add_f64 v[26:27], v[97:98], v[26:27]
	v_mul_f64 v[113:114], v[24:25], s[26:27]
	v_add_f64 v[101:102], v[101:102], v[99:100]
	v_add_f64 v[107:108], v[2:3], v[107:108]
	v_fma_f64 v[123:124], v[50:51], s[28:29], v[111:112]
	v_fma_f64 v[105:106], v[62:63], s[26:27], v[105:106]
	v_add_f64 v[99:100], v[103:104], v[46:47]
	v_mul_f64 v[119:120], v[38:39], s[40:41]
	v_add_f64 v[26:27], v[117:118], v[26:27]
	v_fma_f64 v[115:116], v[28:29], s[14:15], v[113:114]
	v_fma_f64 v[121:122], v[20:21], s[24:25], -v[121:122]
	v_mul_f64 v[46:47], v[44:45], s[38:39]
	v_add_f64 v[103:104], v[123:124], v[107:108]
	v_fma_f64 v[107:108], v[74:75], s[8:9], v[125:126]
	v_fma_f64 v[111:112], v[50:51], s[38:39], v[111:112]
	v_fma_f64 v[113:114], v[28:29], s[14:15], -v[113:114]
	v_mul_f64 v[86:87], v[86:87], s[20:21]
	v_add_f64 v[97:98], v[115:116], v[34:35]
	v_fma_f64 v[34:35], v[36:37], s[24:25], v[119:120]
	v_add_f64 v[101:102], v[121:122], v[101:102]
	v_mul_f64 v[115:116], v[78:79], s[14:15]
	v_add_f64 v[107:108], v[107:108], v[103:104]
	v_add_f64 v[103:104], v[105:106], v[26:27]
	v_fma_f64 v[26:27], v[42:43], s[40:41], v[109:110]
	v_fma_f64 v[105:106], v[36:37], s[24:25], -v[119:120]
	v_fma_f64 v[117:118], v[40:41], s[22:23], v[46:47]
	v_add_f64 v[34:35], v[0:1], v[34:35]
	v_mul_f64 v[121:122], v[80:81], s[18:19]
	v_fma_f64 v[46:47], v[40:41], s[22:23], -v[46:47]
	v_add_f64 v[101:102], v[113:114], v[101:102]
	v_mul_f64 v[113:114], v[76:77], s[16:17]
	v_add_f64 v[26:27], v[2:3], v[26:27]
	v_add_f64 v[105:106], v[0:1], v[105:106]
	v_mul_f64 v[119:120], v[22:23], s[44:45]
	v_add_f64 v[34:35], v[117:118], v[34:35]
	v_mul_f64 v[117:118], v[72:73], s[42:43]
	v_mul_f64 v[38:39], v[38:39], s[30:31]
	v_fma_f64 v[123:124], v[70:71], s[26:27], v[115:116]
	v_mul_f64 v[84:85], v[84:85], s[24:25]
	v_add_f64 v[26:27], v[111:112], v[26:27]
	v_fma_f64 v[111:112], v[74:75], s[18:19], v[125:126]
	v_add_f64 v[46:47], v[46:47], v[105:106]
	v_fma_f64 v[105:106], v[48:49], s[6:7], -v[121:122]
	v_mul_f64 v[44:45], v[44:45], s[40:41]
	v_fma_f64 v[109:110], v[48:49], s[6:7], v[121:122]
	v_mul_f64 v[82:83], v[82:83], s[42:43]
	v_mul_f64 v[80:81], v[80:81], s[46:47]
	;; [unrolled: 1-line block ×3, first 2 shown]
	v_add_f64 v[26:27], v[111:112], v[26:27]
	v_fma_f64 v[111:112], v[70:71], s[16:17], v[115:116]
	v_add_f64 v[46:47], v[105:106], v[46:47]
	v_fma_f64 v[105:106], v[68:69], s[14:15], -v[113:114]
	v_fma_f64 v[115:116], v[42:43], s[30:31], v[86:87]
	v_fma_f64 v[42:43], v[42:43], s[36:37], v[86:87]
	v_add_f64 v[34:35], v[109:110], v[34:35]
	v_fma_f64 v[109:110], v[68:69], s[14:15], v[113:114]
	v_mul_f64 v[22:23], v[22:23], s[26:27]
	v_add_f64 v[26:27], v[111:112], v[26:27]
	v_fma_f64 v[111:112], v[66:67], s[44:45], v[117:118]
	v_add_f64 v[46:47], v[105:106], v[46:47]
	v_fma_f64 v[105:106], v[20:21], s[42:43], -v[119:120]
	v_mul_f64 v[113:114], v[24:25], s[36:37]
	v_mul_f64 v[24:25], v[24:25], s[18:19]
	v_add_f64 v[34:35], v[109:110], v[34:35]
	v_fma_f64 v[109:110], v[20:21], s[42:43], v[119:120]
	v_add_f64 v[107:108], v[123:124], v[107:108]
	v_add_f64 v[26:27], v[111:112], v[26:27]
	v_fma_f64 v[111:112], v[36:37], s[20:21], -v[38:39]
	v_fma_f64 v[36:37], v[36:37], s[20:21], v[38:39]
	v_add_f64 v[46:47], v[105:106], v[46:47]
	v_add_f64 v[105:106], v[2:3], v[115:116]
	v_fma_f64 v[115:116], v[50:51], s[40:41], v[84:85]
	v_add_f64 v[2:3], v[2:3], v[42:43]
	v_mul_f64 v[42:43], v[78:79], s[22:23]
	v_add_f64 v[34:35], v[109:110], v[34:35]
	v_add_f64 v[86:87], v[0:1], v[111:112]
	v_fma_f64 v[111:112], v[40:41], s[24:25], -v[44:45]
	v_add_f64 v[0:1], v[0:1], v[36:37]
	v_fma_f64 v[36:37], v[50:51], s[34:35], v[84:85]
	v_fma_f64 v[40:41], v[40:41], s[24:25], v[44:45]
	v_add_f64 v[38:39], v[115:116], v[105:106]
	v_fma_f64 v[105:106], v[74:75], s[46:47], v[82:83]
	v_mul_f64 v[44:45], v[76:77], s[38:39]
	v_fma_f64 v[74:75], v[74:75], s[44:45], v[82:83]
	v_add_f64 v[78:79], v[111:112], v[86:87]
	v_fma_f64 v[86:87], v[48:49], s[42:43], -v[80:81]
	v_add_f64 v[2:3], v[36:37], v[2:3]
	v_fma_f64 v[36:37], v[48:49], s[42:43], v[80:81]
	v_add_f64 v[0:1], v[40:41], v[0:1]
	v_add_f64 v[38:39], v[105:106], v[38:39]
	v_fma_f64 v[50:51], v[70:71], s[38:39], v[42:43]
	v_fma_f64 v[40:41], v[68:69], s[22:23], -v[44:45]
	v_fma_f64 v[44:45], v[68:69], s[22:23], v[44:45]
	v_add_f64 v[76:77], v[86:87], v[78:79]
	v_fma_f64 v[42:43], v[70:71], s[28:29], v[42:43]
	v_add_f64 v[2:3], v[74:75], v[2:3]
	v_add_f64 v[0:1], v[36:37], v[0:1]
	v_mul_f64 v[109:110], v[64:65], s[20:21]
	v_add_f64 v[38:39], v[50:51], v[38:39]
	v_fma_f64 v[48:49], v[66:67], s[26:27], v[72:73]
	v_mul_f64 v[50:51], v[64:65], s[6:7]
	v_add_f64 v[36:37], v[40:41], v[76:77]
	v_fma_f64 v[40:41], v[20:21], s[14:15], -v[22:23]
	v_fma_f64 v[20:21], v[20:21], s[14:15], v[22:23]
	v_add_f64 v[0:1], v[44:45], v[0:1]
	v_fma_f64 v[123:124], v[66:67], s[46:47], v[117:118]
	v_fma_f64 v[64:65], v[66:67], s[16:17], v[72:73]
	v_add_f64 v[2:3], v[42:43], v[2:3]
	v_fma_f64 v[117:118], v[62:63], s[30:31], v[109:110]
	v_fma_f64 v[109:110], v[62:63], s[36:37], v[109:110]
	v_add_f64 v[38:39], v[48:49], v[38:39]
	v_add_f64 v[36:37], v[40:41], v[36:37]
	v_fma_f64 v[40:41], v[62:63], s[18:19], v[50:51]
	v_fma_f64 v[42:43], v[28:29], s[6:7], -v[24:25]
	v_fma_f64 v[119:120], v[28:29], s[20:21], v[113:114]
	v_fma_f64 v[113:114], v[28:29], s[20:21], -v[113:114]
	v_fma_f64 v[44:45], v[62:63], s[8:9], v[50:51]
	v_fma_f64 v[28:29], v[28:29], s[6:7], v[24:25]
	v_add_f64 v[50:51], v[20:21], v[0:1]
	v_add_f64 v[107:108], v[123:124], v[107:108]
	v_add_f64 v[48:49], v[64:65], v[2:3]
	v_add_f64 v[22:23], v[109:110], v[26:27]
	v_add_f64 v[26:27], v[40:41], v[38:39]
	v_add_f64 v[24:25], v[42:43], v[36:37]
	v_add_f64 v[20:21], v[113:114], v[46:47]
	s_movk_i32 s6, 0xc0
	v_add_f64 v[0:1], v[119:120], v[34:35]
	v_add_f64 v[34:35], v[28:29], v[50:51]
	v_mad_u32_u24 v28, v54, s6, v88
	v_add_f64 v[2:3], v[117:118], v[107:108]
	v_add_f64 v[36:37], v[44:45], v[48:49]
	ds_write_b128 v28, v[8:11]
	ds_write_b128 v28, v[24:27] offset:16
	ds_write_b128 v28, v[20:23] offset:32
	;; [unrolled: 1-line block ×12, first 2 shown]
.LBB0_21:
	s_or_b64 exec, exec, s[4:5]
	s_movk_i32 s4, 0x4f
	v_add_u16_e32 v8, 52, v54
	v_mul_lo_u16_sdwa v0, v54, s4 dst_sel:DWORD dst_unused:UNUSED_PAD src0_sel:BYTE_0 src1_sel:DWORD
	v_mul_lo_u16_sdwa v9, v8, s4 dst_sel:DWORD dst_unused:UNUSED_PAD src0_sel:BYTE_0 src1_sel:DWORD
	v_lshrrev_b16_e32 v55, 10, v0
	v_lshrrev_b16_e32 v113, 10, v9
	v_mul_lo_u16_e32 v0, 13, v55
	v_mul_lo_u16_e32 v9, 13, v113
	v_sub_u16_e32 v86, v54, v0
	v_mov_b32_e32 v24, 3
	v_sub_u16_e32 v114, v8, v9
	v_mul_u32_u24_sdwa v0, v86, v24 dst_sel:DWORD dst_unused:UNUSED_PAD src0_sel:BYTE_0 src1_sel:DWORD
	v_mul_u32_u24_sdwa v8, v114, v24 dst_sel:DWORD dst_unused:UNUSED_PAD src0_sel:BYTE_0 src1_sel:DWORD
	v_lshlrev_b32_e32 v25, 4, v0
	v_lshlrev_b32_e32 v26, 4, v8
	s_waitcnt lgkmcnt(0)
	; wave barrier
	s_waitcnt lgkmcnt(0)
	global_load_dwordx4 v[0:3], v25, s[12:13] offset:16
	global_load_dwordx4 v[4:7], v25, s[12:13]
	global_load_dwordx4 v[8:11], v26, s[12:13] offset:32
	global_load_dwordx4 v[12:15], v26, s[12:13] offset:16
	;; [unrolled: 1-line block ×3, first 2 shown]
	global_load_dwordx4 v[20:23], v26, s[12:13]
	v_add_u16_e32 v25, 0x68, v54
	v_mul_lo_u16_sdwa v26, v25, s4 dst_sel:DWORD dst_unused:UNUSED_PAD src0_sel:BYTE_0 src1_sel:DWORD
	v_lshrrev_b16_e32 v115, 10, v26
	v_mul_lo_u16_e32 v26, 13, v115
	v_sub_u16_e32 v116, v25, v26
	v_mul_u32_u24_sdwa v24, v116, v24 dst_sel:DWORD dst_unused:UNUSED_PAD src0_sel:BYTE_0 src1_sel:DWORD
	v_lshlrev_b32_e32 v36, 4, v24
	global_load_dwordx4 v[24:27], v36, s[12:13]
	global_load_dwordx4 v[28:31], v36, s[12:13] offset:16
	global_load_dwordx4 v[32:35], v36, s[12:13] offset:32
	ds_read_b128 v[36:39], v88
	ds_read_b128 v[40:43], v88 offset:832
	ds_read_b128 v[44:47], v88 offset:4992
	;; [unrolled: 1-line block ×11, first 2 shown]
	v_mov_b32_e32 v117, 4
	v_mul_u32_u24_e32 v55, 0x340, v55
	v_lshlrev_b32_sdwa v86, v117, v86 dst_sel:DWORD dst_unused:UNUSED_PAD src0_sel:DWORD src1_sel:BYTE_0
	v_add3_u32 v55, 0, v55, v86
	s_waitcnt lgkmcnt(0)
	; wave barrier
	s_waitcnt lgkmcnt(0)
	s_mov_b32 s4, 0xe8584caa
	s_mov_b32 s5, 0x3febb67a
	;; [unrolled: 1-line block ×4, first 2 shown]
	s_waitcnt vmcnt(6)
	v_mul_f64 v[105:106], v[91:92], v[10:11]
	v_mul_f64 v[97:98], v[46:47], v[2:3]
	;; [unrolled: 1-line block ×5, first 2 shown]
	s_waitcnt vmcnt(4)
	v_mul_f64 v[99:100], v[80:81], v[18:19]
	v_mul_f64 v[18:19], v[78:79], v[18:19]
	s_waitcnt vmcnt(3)
	v_mul_f64 v[101:102], v[72:73], v[22:23]
	v_mul_f64 v[22:23], v[70:71], v[22:23]
	;; [unrolled: 1-line block ×5, first 2 shown]
	s_waitcnt vmcnt(2)
	v_mul_f64 v[107:108], v[76:77], v[26:27]
	v_mul_f64 v[26:27], v[74:75], v[26:27]
	s_waitcnt vmcnt(1)
	v_mul_f64 v[109:110], v[84:85], v[30:31]
	v_mul_f64 v[30:31], v[82:83], v[30:31]
	;; [unrolled: 3-line block ×3, first 2 shown]
	v_fma_f64 v[62:63], v[62:63], v[4:5], -v[86:87]
	v_fma_f64 v[4:5], v[64:65], v[4:5], v[6:7]
	v_fma_f64 v[6:7], v[44:45], v[0:1], -v[97:98]
	v_fma_f64 v[0:1], v[46:47], v[0:1], v[2:3]
	;; [unrolled: 2-line block ×9, first 2 shown]
	v_add_f64 v[34:35], v[36:37], -v[6:7]
	v_add_f64 v[44:45], v[38:39], -v[0:1]
	;; [unrolled: 1-line block ×12, first 2 shown]
	v_fma_f64 v[26:27], v[36:37], 2.0, -v[34:35]
	v_fma_f64 v[36:37], v[38:39], 2.0, -v[44:45]
	;; [unrolled: 1-line block ×12, first 2 shown]
	v_add_f64 v[0:1], v[34:35], -v[0:1]
	v_add_f64 v[4:5], v[46:47], -v[8:9]
	;; [unrolled: 1-line block ×3, first 2 shown]
	v_add_f64 v[10:11], v[64:65], v[12:13]
	v_add_f64 v[12:13], v[26:27], -v[16:17]
	v_add_f64 v[14:15], v[36:37], -v[22:23]
	v_add_f64 v[2:3], v[44:45], v[2:3]
	v_add_f64 v[20:21], v[40:41], -v[28:29]
	v_add_f64 v[22:23], v[42:43], -v[30:31]
	;; [unrolled: 3-line block ×3, first 2 shown]
	v_fma_f64 v[16:17], v[34:35], 2.0, -v[0:1]
	v_fma_f64 v[32:33], v[26:27], 2.0, -v[12:13]
	;; [unrolled: 1-line block ×12, first 2 shown]
	ds_write_b128 v55, v[32:35]
	ds_write_b128 v55, v[16:19] offset:208
	ds_write_b128 v55, v[12:15] offset:416
	;; [unrolled: 1-line block ×3, first 2 shown]
	v_mul_u32_u24_e32 v0, 0x340, v113
	v_lshlrev_b32_sdwa v1, v117, v114 dst_sel:DWORD dst_unused:UNUSED_PAD src0_sel:DWORD src1_sel:BYTE_0
	v_add3_u32 v0, 0, v0, v1
	ds_write_b128 v0, v[40:43]
	ds_write_b128 v0, v[24:27] offset:208
	ds_write_b128 v0, v[20:23] offset:416
	;; [unrolled: 1-line block ×3, first 2 shown]
	v_mul_u32_u24_e32 v0, 0x340, v115
	v_lshlrev_b32_sdwa v1, v117, v116 dst_sel:DWORD dst_unused:UNUSED_PAD src0_sel:DWORD src1_sel:BYTE_0
	v_add3_u32 v0, 0, v0, v1
	ds_write_b128 v0, v[44:47]
	ds_write_b128 v0, v[36:39] offset:208
	ds_write_b128 v0, v[28:31] offset:416
	;; [unrolled: 1-line block ×3, first 2 shown]
	v_mul_u32_u24_e32 v0, 5, v54
	v_lshlrev_b32_e32 v20, 4, v0
	s_waitcnt lgkmcnt(0)
	; wave barrier
	s_waitcnt lgkmcnt(0)
	global_load_dwordx4 v[0:3], v20, s[12:13] offset:624
	global_load_dwordx4 v[4:7], v20, s[12:13] offset:640
	;; [unrolled: 1-line block ×5, first 2 shown]
	ds_read_b128 v[20:23], v88
	ds_read_b128 v[24:27], v88 offset:832
	ds_read_b128 v[28:31], v88 offset:1664
	;; [unrolled: 1-line block ×11, first 2 shown]
	s_waitcnt lgkmcnt(0)
	; wave barrier
	s_waitcnt vmcnt(4) lgkmcnt(0)
	v_mul_f64 v[78:79], v[30:31], v[2:3]
	v_mul_f64 v[80:81], v[28:29], v[2:3]
	s_waitcnt vmcnt(2)
	v_mul_f64 v[89:90], v[44:45], v[10:11]
	v_mul_f64 v[82:83], v[38:39], v[6:7]
	s_waitcnt vmcnt(0)
	v_mul_f64 v[97:98], v[70:71], v[18:19]
	v_mul_f64 v[84:85], v[36:37], v[6:7]
	;; [unrolled: 1-line block ×8, first 2 shown]
	v_fma_f64 v[46:47], v[46:47], v[8:9], v[89:90]
	v_fma_f64 v[72:73], v[72:73], v[16:17], v[97:98]
	v_mul_f64 v[99:100], v[34:35], v[2:3]
	v_mul_f64 v[2:3], v[32:33], v[2:3]
	;; [unrolled: 1-line block ×6, first 2 shown]
	v_fma_f64 v[28:29], v[28:29], v[0:1], -v[78:79]
	v_fma_f64 v[30:31], v[30:31], v[0:1], v[80:81]
	v_fma_f64 v[36:37], v[36:37], v[4:5], -v[82:83]
	v_fma_f64 v[38:39], v[38:39], v[4:5], v[84:85]
	v_fma_f64 v[44:45], v[44:45], v[8:9], -v[86:87]
	v_fma_f64 v[62:63], v[62:63], v[12:13], -v[91:92]
	v_fma_f64 v[64:65], v[64:65], v[12:13], v[93:94]
	v_fma_f64 v[70:71], v[70:71], v[16:17], -v[95:96]
	v_fma_f64 v[74:75], v[74:75], v[16:17], -v[107:108]
	v_fma_f64 v[18:19], v[76:77], v[16:17], v[18:19]
	v_add_f64 v[16:17], v[46:47], v[72:73]
	v_mul_f64 v[101:102], v[42:43], v[6:7]
	v_mul_f64 v[6:7], v[40:41], v[6:7]
	v_fma_f64 v[32:33], v[32:33], v[0:1], -v[99:100]
	v_fma_f64 v[34:35], v[34:35], v[0:1], v[2:3]
	v_fma_f64 v[48:49], v[48:49], v[8:9], -v[103:104]
	v_fma_f64 v[50:51], v[50:51], v[8:9], v[10:11]
	;; [unrolled: 2-line block ×3, first 2 shown]
	v_add_f64 v[0:1], v[20:21], v[36:37]
	v_add_f64 v[2:3], v[36:37], v[62:63]
	;; [unrolled: 1-line block ×5, first 2 shown]
	v_add_f64 v[44:45], v[44:45], -v[70:71]
	v_fma_f64 v[16:17], v[16:17], -0.5, v[30:31]
	v_fma_f64 v[40:41], v[40:41], v[4:5], -v[101:102]
	v_fma_f64 v[42:43], v[42:43], v[4:5], v[6:7]
	v_add_f64 v[4:5], v[38:39], -v[64:65]
	v_add_f64 v[6:7], v[22:23], v[38:39]
	v_add_f64 v[10:11], v[36:37], -v[62:63]
	v_add_f64 v[36:37], v[46:47], -v[72:73]
	v_add_f64 v[38:39], v[30:31], v[46:47]
	v_fma_f64 v[14:15], v[14:15], -0.5, v[28:29]
	v_add_f64 v[62:63], v[0:1], v[62:63]
	v_fma_f64 v[0:1], v[2:3], -0.5, v[20:21]
	v_fma_f64 v[2:3], v[8:9], -0.5, v[22:23]
	v_fma_f64 v[8:9], v[44:45], s[6:7], v[16:17]
	v_add_f64 v[76:77], v[40:41], v[66:67]
	v_add_f64 v[80:81], v[48:49], v[74:75]
	;; [unrolled: 1-line block ×3, first 2 shown]
	v_fma_f64 v[20:21], v[36:37], s[6:7], v[14:15]
	v_fma_f64 v[14:15], v[36:37], s[4:5], v[14:15]
	v_add_f64 v[28:29], v[50:51], v[18:19]
	v_add_f64 v[6:7], v[6:7], v[64:65]
	v_mul_f64 v[38:39], v[8:9], s[4:5]
	v_fma_f64 v[16:17], v[44:45], s[4:5], v[16:17]
	v_fma_f64 v[72:73], v[4:5], s[4:5], v[0:1]
	v_add_f64 v[46:47], v[24:25], v[40:41]
	v_mul_f64 v[44:45], v[20:21], -0.5
	v_mul_f64 v[64:65], v[14:15], s[6:7]
	v_add_f64 v[78:79], v[42:43], -v[68:69]
	v_add_f64 v[30:31], v[48:49], -v[74:75]
	v_fma_f64 v[38:39], v[14:15], 0.5, v[38:39]
	v_add_f64 v[12:13], v[12:13], v[70:71]
	v_fma_f64 v[24:25], v[76:77], -0.5, v[24:25]
	v_fma_f64 v[36:37], v[80:81], -0.5, v[32:33]
	v_mul_f64 v[70:71], v[16:17], -0.5
	v_fma_f64 v[76:77], v[4:5], s[6:7], v[0:1]
	v_fma_f64 v[44:45], v[16:17], s[4:5], v[44:45]
	v_fma_f64 v[64:65], v[8:9], 0.5, v[64:65]
	v_fma_f64 v[28:29], v[28:29], -0.5, v[34:35]
	v_add_f64 v[8:9], v[72:73], v[38:39]
	v_add_f64 v[16:17], v[72:73], -v[38:39]
	v_add_f64 v[38:39], v[50:51], -v[18:19]
	v_fma_f64 v[80:81], v[10:11], s[6:7], v[2:3]
	v_fma_f64 v[82:83], v[10:11], s[4:5], v[2:3]
	v_add_f64 v[2:3], v[6:7], v[22:23]
	v_add_f64 v[6:7], v[6:7], -v[22:23]
	v_add_f64 v[22:23], v[26:27], v[42:43]
	v_fma_f64 v[70:71], v[20:21], s[6:7], v[70:71]
	v_add_f64 v[0:1], v[62:63], v[12:13]
	v_add_f64 v[4:5], v[62:63], -v[12:13]
	v_add_f64 v[12:13], v[76:77], v[44:45]
	v_add_f64 v[20:21], v[76:77], -v[44:45]
	v_add_f64 v[44:45], v[42:43], v[68:69]
	v_fma_f64 v[62:63], v[78:79], s[4:5], v[24:25]
	v_fma_f64 v[42:43], v[78:79], s[6:7], v[24:25]
	;; [unrolled: 1-line block ×6, first 2 shown]
	v_add_f64 v[38:39], v[22:23], v[68:69]
	v_add_f64 v[22:23], v[32:33], v[48:49]
	;; [unrolled: 1-line block ×3, first 2 shown]
	v_fma_f64 v[26:27], v[44:45], -0.5, v[26:27]
	v_add_f64 v[30:31], v[40:41], -v[66:67]
	v_mul_f64 v[32:33], v[24:25], s[4:5]
	v_mul_f64 v[44:45], v[36:37], s[6:7]
	v_mul_f64 v[40:41], v[72:73], -0.5
	v_mul_f64 v[48:49], v[28:29], -0.5
	v_add_f64 v[46:47], v[46:47], v[66:67]
	v_add_f64 v[68:69], v[22:23], v[74:75]
	;; [unrolled: 1-line block ×3, first 2 shown]
	v_fma_f64 v[50:51], v[30:31], s[6:7], v[26:27]
	v_fma_f64 v[74:75], v[36:37], 0.5, v[32:33]
	v_fma_f64 v[84:85], v[24:25], 0.5, v[44:45]
	v_fma_f64 v[66:67], v[30:31], s[4:5], v[26:27]
	v_fma_f64 v[76:77], v[28:29], s[4:5], v[40:41]
	;; [unrolled: 1-line block ×3, first 2 shown]
	v_add_f64 v[10:11], v[80:81], v[64:65]
	v_add_f64 v[14:15], v[82:83], v[70:71]
	v_add_f64 v[18:19], v[80:81], -v[64:65]
	v_add_f64 v[22:23], v[82:83], -v[70:71]
	v_add_f64 v[24:25], v[46:47], v[68:69]
	v_add_f64 v[26:27], v[38:39], v[78:79]
	;; [unrolled: 1-line block ×6, first 2 shown]
	v_add_f64 v[36:37], v[46:47], -v[68:69]
	v_add_f64 v[40:41], v[62:63], -v[74:75]
	;; [unrolled: 1-line block ×6, first 2 shown]
	ds_write_b128 v88, v[0:3]
	ds_write_b128 v88, v[8:11] offset:832
	ds_write_b128 v88, v[12:15] offset:1664
	;; [unrolled: 1-line block ×11, first 2 shown]
	v_mov_b32_e32 v4, s13
	v_add_co_u32_e32 v0, vcc, s12, v58
	v_addc_co_u32_e32 v1, vcc, v4, v59, vcc
	v_add_co_u32_e32 v0, vcc, s33, v0
	v_addc_co_u32_e32 v1, vcc, 0, v1, vcc
	;; [unrolled: 2-line block ×3, first 2 shown]
	v_add_co_u32_e32 v20, vcc, s33, v22
	s_waitcnt lgkmcnt(0)
	; wave barrier
	s_waitcnt lgkmcnt(0)
	global_load_dwordx4 v[0:3], v[0:1], off offset:688
	v_addc_co_u32_e32 v21, vcc, 0, v23, vcc
	global_load_dwordx4 v[4:7], v[20:21], off offset:1520
	global_load_dwordx4 v[8:11], v[20:21], off offset:2352
	;; [unrolled: 1-line block ×4, first 2 shown]
	s_movk_i32 s4, 0x2000
	v_add_co_u32_e32 v20, vcc, s4, v22
	v_addc_co_u32_e32 v21, vcc, 0, v23, vcc
	global_load_dwordx4 v[20:23], v[20:21], off offset:752
	ds_read_b128 v[24:27], v88
	ds_read_b128 v[28:31], v88 offset:832
	ds_read_b128 v[32:35], v88 offset:4992
	;; [unrolled: 1-line block ×11, first 2 shown]
	s_waitcnt lgkmcnt(0)
	; wave barrier
	s_waitcnt vmcnt(5) lgkmcnt(0)
	v_mul_f64 v[78:79], v[34:35], v[2:3]
	v_mul_f64 v[2:3], v[32:33], v[2:3]
	s_waitcnt vmcnt(4)
	v_mul_f64 v[80:81], v[38:39], v[6:7]
	v_mul_f64 v[6:7], v[36:37], v[6:7]
	s_waitcnt vmcnt(3)
	;; [unrolled: 3-line block ×3, first 2 shown]
	v_mul_f64 v[84:85], v[60:61], v[14:15]
	v_mul_f64 v[14:15], v[58:59], v[14:15]
	v_fma_f64 v[32:33], v[32:33], v[0:1], -v[78:79]
	v_fma_f64 v[2:3], v[34:35], v[0:1], v[2:3]
	v_fma_f64 v[34:35], v[36:37], v[4:5], -v[80:81]
	v_fma_f64 v[6:7], v[38:39], v[4:5], v[6:7]
	;; [unrolled: 2-line block ×4, first 2 shown]
	s_waitcnt vmcnt(1)
	v_mul_f64 v[8:9], v[72:73], v[18:19]
	v_mul_f64 v[10:11], v[70:71], v[18:19]
	s_waitcnt vmcnt(0)
	v_mul_f64 v[12:13], v[76:77], v[22:23]
	v_mul_f64 v[14:15], v[74:75], v[22:23]
	v_add_f64 v[0:1], v[24:25], -v[32:33]
	v_add_f64 v[2:3], v[26:27], -v[2:3]
	v_add_f64 v[4:5], v[28:29], -v[34:35]
	v_add_f64 v[6:7], v[30:31], -v[6:7]
	v_fma_f64 v[32:33], v[70:71], v[16:17], -v[8:9]
	v_fma_f64 v[34:35], v[72:73], v[16:17], v[10:11]
	v_fma_f64 v[58:59], v[74:75], v[20:21], -v[12:13]
	v_fma_f64 v[60:61], v[76:77], v[20:21], v[14:15]
	v_add_f64 v[16:17], v[40:41], -v[36:37]
	v_add_f64 v[18:19], v[42:43], -v[38:39]
	;; [unrolled: 1-line block ×4, first 2 shown]
	v_fma_f64 v[8:9], v[24:25], 2.0, -v[0:1]
	v_fma_f64 v[10:11], v[26:27], 2.0, -v[2:3]
	;; [unrolled: 1-line block ×4, first 2 shown]
	v_add_f64 v[24:25], v[62:63], -v[32:33]
	v_add_f64 v[26:27], v[64:65], -v[34:35]
	;; [unrolled: 1-line block ×4, first 2 shown]
	v_fma_f64 v[32:33], v[40:41], 2.0, -v[16:17]
	v_fma_f64 v[34:35], v[42:43], 2.0, -v[18:19]
	;; [unrolled: 1-line block ×8, first 2 shown]
	ds_write_b128 v88, v[8:11]
	ds_write_b128 v88, v[0:3] offset:4992
	ds_write_b128 v88, v[12:15] offset:832
	;; [unrolled: 1-line block ×11, first 2 shown]
	s_waitcnt lgkmcnt(0)
	; wave barrier
	s_waitcnt lgkmcnt(0)
	s_and_saveexec_b64 s[4:5], s[0:1]
	s_cbranch_execz .LBB0_23
; %bb.22:
	v_mul_lo_u32 v0, s3, v56
	v_mul_lo_u32 v1, s2, v57
	v_mad_u64_u32 v[4:5], s[0:1], s2, v56, 0
	v_mov_b32_e32 v6, s11
	v_lshl_add_u32 v10, v54, 4, 0
	v_add3_u32 v5, v5, v1, v0
	v_lshlrev_b64 v[4:5], 4, v[4:5]
	v_mov_b32_e32 v55, 0
	v_add_co_u32_e32 v7, vcc, s10, v4
	v_addc_co_u32_e32 v6, vcc, v6, v5, vcc
	v_lshlrev_b64 v[4:5], 4, v[52:53]
	ds_read_b128 v[0:3], v10
	v_add_co_u32_e32 v11, vcc, v7, v4
	v_addc_co_u32_e32 v12, vcc, v6, v5, vcc
	v_lshlrev_b64 v[4:5], 4, v[54:55]
	v_add_co_u32_e32 v8, vcc, v11, v4
	v_addc_co_u32_e32 v9, vcc, v12, v5, vcc
	ds_read_b128 v[4:7], v10 offset:832
	s_waitcnt lgkmcnt(1)
	global_store_dwordx4 v[8:9], v[0:3], off
	s_nop 0
	v_add_u32_e32 v0, 52, v54
	v_mov_b32_e32 v1, v55
	v_lshlrev_b64 v[0:1], 4, v[0:1]
	v_add_co_u32_e32 v0, vcc, v11, v0
	v_addc_co_u32_e32 v1, vcc, v12, v1, vcc
	s_waitcnt lgkmcnt(0)
	global_store_dwordx4 v[0:1], v[4:7], off
	ds_read_b128 v[0:3], v10 offset:1664
	v_add_u32_e32 v4, 0x68, v54
	v_mov_b32_e32 v5, v55
	v_lshlrev_b64 v[4:5], 4, v[4:5]
	v_add_co_u32_e32 v8, vcc, v11, v4
	v_addc_co_u32_e32 v9, vcc, v12, v5, vcc
	ds_read_b128 v[4:7], v10 offset:2496
	s_waitcnt lgkmcnt(1)
	global_store_dwordx4 v[8:9], v[0:3], off
	s_nop 0
	v_add_u32_e32 v0, 0x9c, v54
	v_mov_b32_e32 v1, v55
	v_lshlrev_b64 v[0:1], 4, v[0:1]
	v_add_co_u32_e32 v0, vcc, v11, v0
	v_addc_co_u32_e32 v1, vcc, v12, v1, vcc
	s_waitcnt lgkmcnt(0)
	global_store_dwordx4 v[0:1], v[4:7], off
	ds_read_b128 v[0:3], v10 offset:3328
	v_add_u32_e32 v4, 0xd0, v54
	v_mov_b32_e32 v5, v55
	;; [unrolled: 17-line block ×5, first 2 shown]
	v_lshlrev_b64 v[4:5], 4, v[4:5]
	v_add_u32_e32 v54, 0x23c, v54
	v_add_co_u32_e32 v8, vcc, v11, v4
	v_addc_co_u32_e32 v9, vcc, v12, v5, vcc
	ds_read_b128 v[4:7], v10 offset:9152
	s_waitcnt lgkmcnt(1)
	global_store_dwordx4 v[8:9], v[0:3], off
	s_nop 0
	v_lshlrev_b64 v[0:1], 4, v[54:55]
	v_add_co_u32_e32 v0, vcc, v11, v0
	v_addc_co_u32_e32 v1, vcc, v12, v1, vcc
	s_waitcnt lgkmcnt(0)
	global_store_dwordx4 v[0:1], v[4:7], off
.LBB0_23:
	s_endpgm
	.section	.rodata,"a",@progbits
	.p2align	6, 0x0
	.amdhsa_kernel fft_rtc_fwd_len624_factors_13_4_6_2_wgs_52_tpt_52_dp_op_CI_CI_unitstride_sbrr_C2R_dirReg
		.amdhsa_group_segment_fixed_size 0
		.amdhsa_private_segment_fixed_size 0
		.amdhsa_kernarg_size 104
		.amdhsa_user_sgpr_count 6
		.amdhsa_user_sgpr_private_segment_buffer 1
		.amdhsa_user_sgpr_dispatch_ptr 0
		.amdhsa_user_sgpr_queue_ptr 0
		.amdhsa_user_sgpr_kernarg_segment_ptr 1
		.amdhsa_user_sgpr_dispatch_id 0
		.amdhsa_user_sgpr_flat_scratch_init 0
		.amdhsa_user_sgpr_private_segment_size 0
		.amdhsa_uses_dynamic_stack 0
		.amdhsa_system_sgpr_private_segment_wavefront_offset 0
		.amdhsa_system_sgpr_workgroup_id_x 1
		.amdhsa_system_sgpr_workgroup_id_y 0
		.amdhsa_system_sgpr_workgroup_id_z 0
		.amdhsa_system_sgpr_workgroup_info 0
		.amdhsa_system_vgpr_workitem_id 0
		.amdhsa_next_free_vgpr 127
		.amdhsa_next_free_sgpr 48
		.amdhsa_reserve_vcc 1
		.amdhsa_reserve_flat_scratch 0
		.amdhsa_float_round_mode_32 0
		.amdhsa_float_round_mode_16_64 0
		.amdhsa_float_denorm_mode_32 3
		.amdhsa_float_denorm_mode_16_64 3
		.amdhsa_dx10_clamp 1
		.amdhsa_ieee_mode 1
		.amdhsa_fp16_overflow 0
		.amdhsa_exception_fp_ieee_invalid_op 0
		.amdhsa_exception_fp_denorm_src 0
		.amdhsa_exception_fp_ieee_div_zero 0
		.amdhsa_exception_fp_ieee_overflow 0
		.amdhsa_exception_fp_ieee_underflow 0
		.amdhsa_exception_fp_ieee_inexact 0
		.amdhsa_exception_int_div_zero 0
	.end_amdhsa_kernel
	.text
.Lfunc_end0:
	.size	fft_rtc_fwd_len624_factors_13_4_6_2_wgs_52_tpt_52_dp_op_CI_CI_unitstride_sbrr_C2R_dirReg, .Lfunc_end0-fft_rtc_fwd_len624_factors_13_4_6_2_wgs_52_tpt_52_dp_op_CI_CI_unitstride_sbrr_C2R_dirReg
                                        ; -- End function
	.section	.AMDGPU.csdata,"",@progbits
; Kernel info:
; codeLenInByte = 10440
; NumSgprs: 52
; NumVgprs: 127
; ScratchSize: 0
; MemoryBound: 0
; FloatMode: 240
; IeeeMode: 1
; LDSByteSize: 0 bytes/workgroup (compile time only)
; SGPRBlocks: 6
; VGPRBlocks: 31
; NumSGPRsForWavesPerEU: 52
; NumVGPRsForWavesPerEU: 127
; Occupancy: 2
; WaveLimiterHint : 1
; COMPUTE_PGM_RSRC2:SCRATCH_EN: 0
; COMPUTE_PGM_RSRC2:USER_SGPR: 6
; COMPUTE_PGM_RSRC2:TRAP_HANDLER: 0
; COMPUTE_PGM_RSRC2:TGID_X_EN: 1
; COMPUTE_PGM_RSRC2:TGID_Y_EN: 0
; COMPUTE_PGM_RSRC2:TGID_Z_EN: 0
; COMPUTE_PGM_RSRC2:TIDIG_COMP_CNT: 0
	.type	__hip_cuid_d76d19d3df27b842,@object ; @__hip_cuid_d76d19d3df27b842
	.section	.bss,"aw",@nobits
	.globl	__hip_cuid_d76d19d3df27b842
__hip_cuid_d76d19d3df27b842:
	.byte	0                               ; 0x0
	.size	__hip_cuid_d76d19d3df27b842, 1

	.ident	"AMD clang version 19.0.0git (https://github.com/RadeonOpenCompute/llvm-project roc-6.4.0 25133 c7fe45cf4b819c5991fe208aaa96edf142730f1d)"
	.section	".note.GNU-stack","",@progbits
	.addrsig
	.addrsig_sym __hip_cuid_d76d19d3df27b842
	.amdgpu_metadata
---
amdhsa.kernels:
  - .args:
      - .actual_access:  read_only
        .address_space:  global
        .offset:         0
        .size:           8
        .value_kind:     global_buffer
      - .offset:         8
        .size:           8
        .value_kind:     by_value
      - .actual_access:  read_only
        .address_space:  global
        .offset:         16
        .size:           8
        .value_kind:     global_buffer
      - .actual_access:  read_only
        .address_space:  global
        .offset:         24
        .size:           8
        .value_kind:     global_buffer
      - .actual_access:  read_only
        .address_space:  global
        .offset:         32
        .size:           8
        .value_kind:     global_buffer
      - .offset:         40
        .size:           8
        .value_kind:     by_value
      - .actual_access:  read_only
        .address_space:  global
        .offset:         48
        .size:           8
        .value_kind:     global_buffer
      - .actual_access:  read_only
        .address_space:  global
        .offset:         56
        .size:           8
        .value_kind:     global_buffer
      - .offset:         64
        .size:           4
        .value_kind:     by_value
      - .actual_access:  read_only
        .address_space:  global
        .offset:         72
        .size:           8
        .value_kind:     global_buffer
      - .actual_access:  read_only
        .address_space:  global
        .offset:         80
        .size:           8
        .value_kind:     global_buffer
      - .actual_access:  read_only
        .address_space:  global
        .offset:         88
        .size:           8
        .value_kind:     global_buffer
      - .actual_access:  write_only
        .address_space:  global
        .offset:         96
        .size:           8
        .value_kind:     global_buffer
    .group_segment_fixed_size: 0
    .kernarg_segment_align: 8
    .kernarg_segment_size: 104
    .language:       OpenCL C
    .language_version:
      - 2
      - 0
    .max_flat_workgroup_size: 52
    .name:           fft_rtc_fwd_len624_factors_13_4_6_2_wgs_52_tpt_52_dp_op_CI_CI_unitstride_sbrr_C2R_dirReg
    .private_segment_fixed_size: 0
    .sgpr_count:     52
    .sgpr_spill_count: 0
    .symbol:         fft_rtc_fwd_len624_factors_13_4_6_2_wgs_52_tpt_52_dp_op_CI_CI_unitstride_sbrr_C2R_dirReg.kd
    .uniform_work_group_size: 1
    .uses_dynamic_stack: false
    .vgpr_count:     127
    .vgpr_spill_count: 0
    .wavefront_size: 64
amdhsa.target:   amdgcn-amd-amdhsa--gfx906
amdhsa.version:
  - 1
  - 2
...

	.end_amdgpu_metadata
